;; amdgpu-corpus repo=ROCm/rocFFT kind=compiled arch=gfx906 opt=O3
	.text
	.amdgcn_target "amdgcn-amd-amdhsa--gfx906"
	.amdhsa_code_object_version 6
	.protected	bluestein_single_fwd_len308_dim1_sp_op_CI_CI ; -- Begin function bluestein_single_fwd_len308_dim1_sp_op_CI_CI
	.globl	bluestein_single_fwd_len308_dim1_sp_op_CI_CI
	.p2align	8
	.type	bluestein_single_fwd_len308_dim1_sp_op_CI_CI,@function
bluestein_single_fwd_len308_dim1_sp_op_CI_CI: ; @bluestein_single_fwd_len308_dim1_sp_op_CI_CI
; %bb.0:
	s_load_dwordx4 s[0:3], s[4:5], 0x28
	v_mul_u32_u24_e32 v1, 0x5d2, v0
	v_add_u32_sdwa v42, s6, v1 dst_sel:DWORD dst_unused:UNUSED_PAD src0_sel:DWORD src1_sel:WORD_1
	v_mov_b32_e32 v43, 0
	s_waitcnt lgkmcnt(0)
	v_cmp_gt_u64_e32 vcc, s[0:1], v[42:43]
	s_and_saveexec_b64 s[0:1], vcc
	s_cbranch_execz .LBB0_23
; %bb.1:
	s_load_dwordx2 s[12:13], s[4:5], 0x0
	s_load_dwordx2 s[14:15], s[4:5], 0x38
	v_mov_b32_e32 v2, 44
	v_mul_lo_u16_sdwa v1, v1, v2 dst_sel:DWORD dst_unused:UNUSED_PAD src0_sel:WORD_1 src1_sel:DWORD
	v_sub_u16_e32 v50, v0, v1
	v_cmp_gt_u16_e32 vcc, 28, v50
	v_lshlrev_b32_e32 v49, 3, v50
	s_and_saveexec_b64 s[6:7], vcc
	s_cbranch_execz .LBB0_3
; %bb.2:
	s_load_dwordx2 s[0:1], s[4:5], 0x18
	s_waitcnt lgkmcnt(0)
	s_load_dwordx4 s[8:11], s[0:1], 0x0
	s_waitcnt lgkmcnt(0)
	v_mad_u64_u32 v[0:1], s[0:1], s10, v42, 0
	v_mad_u64_u32 v[2:3], s[0:1], s8, v50, 0
	;; [unrolled: 1-line block ×3, first 2 shown]
	v_mov_b32_e32 v1, v4
	v_lshlrev_b64 v[0:1], 3, v[0:1]
	v_mad_u64_u32 v[5:6], s[0:1], s9, v50, v[3:4]
	v_mov_b32_e32 v6, s3
	v_add_co_u32_e64 v38, s[0:1], s2, v0
	v_addc_co_u32_e64 v39, s[0:1], v6, v1, s[0:1]
	global_load_dwordx2 v[6:7], v49, s[12:13]
	global_load_dwordx2 v[8:9], v49, s[12:13] offset:224
	global_load_dwordx2 v[10:11], v49, s[12:13] offset:448
	;; [unrolled: 1-line block ×3, first 2 shown]
	v_mov_b32_e32 v3, v5
	v_lshlrev_b64 v[2:3], 3, v[2:3]
	s_mul_hi_u32 s3, s8, 0xe0
	v_add_co_u32_e64 v0, s[0:1], v38, v2
	v_addc_co_u32_e64 v1, s[0:1], v39, v3, s[0:1]
	s_mul_i32 s0, s9, 0xe0
	s_mul_i32 s2, s8, 0xe0
	s_add_i32 s3, s3, s0
	v_mov_b32_e32 v3, s3
	v_add_co_u32_e64 v2, s[0:1], s2, v0
	v_addc_co_u32_e64 v3, s[0:1], v1, v3, s[0:1]
	v_mov_b32_e32 v5, s3
	v_add_co_u32_e64 v4, s[0:1], s2, v2
	v_addc_co_u32_e64 v5, s[0:1], v3, v5, s[0:1]
	v_mov_b32_e32 v15, s3
	v_add_co_u32_e64 v14, s[0:1], s2, v4
	v_addc_co_u32_e64 v15, s[0:1], v5, v15, s[0:1]
	v_mov_b32_e32 v24, s3
	global_load_dwordx2 v[16:17], v[0:1], off
	global_load_dwordx2 v[18:19], v[2:3], off
	;; [unrolled: 1-line block ×4, first 2 shown]
	v_add_co_u32_e64 v0, s[0:1], s2, v14
	v_or_b32_e32 v14, 0xe0, v50
	v_addc_co_u32_e64 v1, s[0:1], v15, v24, s[0:1]
	v_mad_u64_u32 v[4:5], s[0:1], s8, v14, 0
	global_load_dwordx2 v[2:3], v[0:1], off
	v_mov_b32_e32 v15, s3
	v_add_co_u32_e64 v0, s[0:1], s2, v0
	v_addc_co_u32_e64 v1, s[0:1], v1, v15, s[0:1]
	global_load_dwordx2 v[24:25], v49, s[12:13] offset:896
	global_load_dwordx2 v[26:27], v49, s[12:13] offset:1120
	;; [unrolled: 1-line block ×4, first 2 shown]
	v_mov_b32_e32 v32, s3
	v_mov_b32_e32 v33, s3
	v_mov_b32_e32 v43, s3
	s_waitcnt vmcnt(12)
	v_mad_u64_u32 v[14:15], s[0:1], s9, v14, v[5:6]
	v_mov_b32_e32 v5, v14
	global_load_dwordx2 v[14:15], v[0:1], off
	v_add_co_u32_e64 v0, s[0:1], s2, v0
	v_addc_co_u32_e64 v1, s[0:1], v1, v32, s[0:1]
	v_add_co_u32_e64 v32, s[0:1], s2, v0
	v_lshlrev_b64 v[4:5], 3, v[4:5]
	v_addc_co_u32_e64 v33, s[0:1], v1, v33, s[0:1]
	global_load_dwordx2 v[34:35], v[0:1], off
	global_load_dwordx2 v[36:37], v[32:33], off
	v_mov_b32_e32 v0, 0x1c0
	v_mad_u64_u32 v[0:1], s[0:1], s8, v0, v[32:33]
	v_add_co_u32_e64 v4, s[0:1], v38, v4
	v_addc_co_u32_e64 v5, s[0:1], v39, v5, s[0:1]
	s_mul_i32 s0, s9, 0x1c0
	global_load_dwordx2 v[4:5], v[4:5], off
	v_add_u32_e32 v1, s0, v1
	global_load_dwordx2 v[32:33], v49, s[12:13] offset:1792
	global_load_dwordx2 v[38:39], v[0:1], off
	global_load_dwordx2 v[40:41], v49, s[12:13] offset:2016
	v_add_co_u32_e64 v0, s[0:1], s2, v0
	v_addc_co_u32_e64 v1, s[0:1], v1, v43, s[0:1]
	global_load_dwordx2 v[43:44], v[0:1], off
	global_load_dwordx2 v[45:46], v49, s[12:13] offset:2240
	s_waitcnt vmcnt(17)
	v_mul_f32_e32 v0, v17, v7
	v_mul_f32_e32 v1, v16, v7
	v_fmac_f32_e32 v0, v16, v6
	v_fma_f32 v1, v17, v6, -v1
	s_waitcnt vmcnt(16)
	v_mul_f32_e32 v6, v18, v9
	v_fma_f32 v7, v19, v8, -v6
	v_mul_f32_e32 v6, v19, v9
	v_fmac_f32_e32 v6, v18, v8
	ds_write2_b64 v49, v[0:1], v[6:7] offset1:28
	s_waitcnt vmcnt(15)
	v_mul_f32_e32 v0, v20, v11
	s_waitcnt vmcnt(14)
	v_mul_f32_e32 v6, v22, v13
	v_fma_f32 v1, v21, v10, -v0
	v_mul_f32_e32 v0, v21, v11
	v_fma_f32 v7, v23, v12, -v6
	v_mul_f32_e32 v6, v23, v13
	v_fmac_f32_e32 v0, v20, v10
	v_fmac_f32_e32 v6, v22, v12
	ds_write2_b64 v49, v[0:1], v[6:7] offset0:56 offset1:84
	s_waitcnt vmcnt(12)
	v_mul_f32_e32 v0, v2, v25
	v_fma_f32 v9, v3, v24, -v0
	v_mul_f32_e32 v8, v3, v25
	v_fmac_f32_e32 v8, v2, v24
	s_waitcnt vmcnt(8)
	v_mul_f32_e32 v0, v14, v27
	v_fma_f32 v1, v15, v26, -v0
	v_mul_f32_e32 v0, v15, v27
	v_fmac_f32_e32 v0, v14, v26
	ds_write2_b64 v49, v[8:9], v[0:1] offset0:112 offset1:140
	s_waitcnt vmcnt(7)
	v_mul_f32_e32 v0, v35, v29
	v_mul_f32_e32 v1, v34, v29
	s_waitcnt vmcnt(6)
	v_mul_f32_e32 v2, v37, v31
	v_mul_f32_e32 v3, v36, v31
	v_fmac_f32_e32 v0, v34, v28
	v_fma_f32 v1, v35, v28, -v1
	v_fmac_f32_e32 v2, v36, v30
	v_fma_f32 v3, v37, v30, -v3
	ds_write2_b64 v49, v[0:1], v[2:3] offset0:168 offset1:196
	s_waitcnt vmcnt(4)
	v_mul_f32_e32 v0, v5, v33
	v_mul_f32_e32 v1, v4, v33
	s_waitcnt vmcnt(2)
	v_mul_f32_e32 v2, v39, v41
	v_mul_f32_e32 v3, v38, v41
	v_fmac_f32_e32 v0, v4, v32
	v_fma_f32 v1, v5, v32, -v1
	v_fmac_f32_e32 v2, v38, v40
	v_fma_f32 v3, v39, v40, -v3
	ds_write2_b64 v49, v[0:1], v[2:3] offset0:224 offset1:252
	s_waitcnt vmcnt(0)
	v_mul_f32_e32 v0, v44, v46
	v_mul_f32_e32 v1, v43, v46
	v_fmac_f32_e32 v0, v43, v45
	v_fma_f32 v1, v44, v45, -v1
	ds_write_b64 v49, v[0:1] offset:2240
.LBB0_3:
	s_or_b64 exec, exec, s[6:7]
	s_load_dwordx2 s[0:1], s[4:5], 0x20
	s_load_dwordx2 s[2:3], s[4:5], 0x8
	v_mov_b32_e32 v4, 0
	v_mov_b32_e32 v5, 0
	s_waitcnt lgkmcnt(0)
	; wave barrier
	s_waitcnt lgkmcnt(0)
                                        ; implicit-def: $vgpr10
                                        ; implicit-def: $vgpr20
                                        ; implicit-def: $vgpr24
                                        ; implicit-def: $vgpr18
                                        ; implicit-def: $vgpr14
	s_and_saveexec_b64 s[4:5], vcc
	s_cbranch_execz .LBB0_5
; %bb.4:
	ds_read2_b64 v[4:7], v49 offset1:28
	ds_read2_b64 v[12:15], v49 offset0:56 offset1:84
	ds_read2_b64 v[16:19], v49 offset0:112 offset1:140
	;; [unrolled: 1-line block ×4, first 2 shown]
	ds_read_b64 v[24:25], v49 offset:2240
.LBB0_5:
	s_or_b64 exec, exec, s[4:5]
	s_waitcnt lgkmcnt(0)
	v_sub_f32_e32 v38, v7, v25
	v_mul_f32_e32 v28, 0xbf0a6770, v38
	v_sub_f32_e32 v48, v13, v23
	v_add_f32_e32 v33, v24, v6
	v_mov_b32_e32 v0, v28
	v_mul_f32_e32 v29, 0xbf68dda4, v48
	v_fmac_f32_e32 v0, 0x3f575c64, v33
	v_add_f32_e32 v36, v22, v12
	v_mov_b32_e32 v1, v29
	v_sub_f32_e32 v45, v6, v24
	v_add_f32_e32 v40, v25, v7
	v_add_f32_e32 v0, v0, v4
	v_fmac_f32_e32 v1, 0x3ed4b147, v36
	s_mov_b32 s7, 0x3f575c64
	v_mul_f32_e32 v30, 0xbf0a6770, v45
	v_sub_f32_e32 v46, v12, v22
	v_add_f32_e32 v0, v1, v0
	v_fma_f32 v1, v40, s7, -v30
	s_mov_b32 s6, 0x3ed4b147
	v_add_f32_e32 v57, v23, v13
	v_mul_f32_e32 v31, 0xbf68dda4, v46
	v_sub_f32_e32 v62, v15, v21
	v_add_f32_e32 v1, v1, v5
	v_fma_f32 v2, v57, s6, -v31
	v_mul_f32_e32 v32, 0xbf7d64f0, v62
	v_add_f32_e32 v1, v2, v1
	v_add_f32_e32 v41, v20, v14
	v_mov_b32_e32 v2, v32
	v_sub_f32_e32 v55, v14, v20
	v_fmac_f32_e32 v2, 0xbe11bafb, v41
	s_mov_b32 s8, 0xbe11bafb
	v_add_f32_e32 v69, v21, v15
	v_mul_f32_e32 v34, 0xbf7d64f0, v55
	v_sub_f32_e32 v70, v17, v11
	v_add_f32_e32 v0, v2, v0
	v_fma_f32 v2, v69, s8, -v34
	v_mul_f32_e32 v35, 0xbf4178ce, v70
	v_add_f32_e32 v1, v2, v1
	v_add_f32_e32 v54, v10, v16
	v_mov_b32_e32 v2, v35
	v_sub_f32_e32 v65, v16, v10
	v_fmac_f32_e32 v2, 0xbf27a4f4, v54
	s_mov_b32 s9, 0xbf27a4f4
	v_add_f32_e32 v67, v11, v17
	v_mul_f32_e32 v37, 0xbf4178ce, v65
	v_sub_f32_e32 v78, v19, v9
	v_add_f32_e32 v0, v2, v0
	v_fma_f32 v2, v67, s9, -v37
	v_mul_f32_e32 v39, 0xbe903f40, v78
	v_add_f32_e32 v1, v2, v1
	v_add_f32_e32 v68, v8, v18
	v_mov_b32_e32 v2, v39
	v_sub_f32_e32 v76, v18, v8
	s_mov_b32 s10, 0xbf75a155
	v_fmac_f32_e32 v2, 0xbf75a155, v68
	v_add_f32_e32 v71, v9, v19
	v_mul_f32_e32 v47, 0xbe903f40, v76
	v_add_f32_e32 v43, v2, v0
	v_fma_f32 v0, v71, s10, -v47
	v_mul_f32_e32 v52, 0xbf68dda4, v38
	v_add_f32_e32 v44, v0, v1
	v_mov_b32_e32 v0, v52
	v_mul_f32_e32 v53, 0xbf4178ce, v48
	v_fmac_f32_e32 v0, 0x3ed4b147, v33
	v_mov_b32_e32 v1, v53
	v_add_f32_e32 v0, v0, v4
	v_fmac_f32_e32 v1, 0xbf27a4f4, v36
	v_mul_f32_e32 v59, 0xbf68dda4, v45
	v_add_f32_e32 v0, v1, v0
	v_fma_f32 v1, v40, s6, -v59
	v_mul_f32_e32 v60, 0xbf4178ce, v46
	v_add_f32_e32 v1, v1, v5
	v_fma_f32 v2, v57, s9, -v60
	v_mul_f32_e32 v56, 0x3e903f40, v62
	v_add_f32_e32 v1, v2, v1
	v_mov_b32_e32 v2, v56
	v_fmac_f32_e32 v2, 0xbf75a155, v41
	v_mul_f32_e32 v63, 0x3e903f40, v55
	v_add_f32_e32 v0, v2, v0
	v_fma_f32 v2, v69, s10, -v63
	v_mul_f32_e32 v58, 0x3f7d64f0, v70
	v_add_f32_e32 v1, v2, v1
	v_mov_b32_e32 v2, v58
	v_fmac_f32_e32 v2, 0xbe11bafb, v54
	;; [unrolled: 7-line block ×3, first 2 shown]
	v_mul_f32_e32 v66, 0x3f0a6770, v76
	v_mul_f32_e32 v72, 0xbf7d64f0, v38
	v_fma_f32 v3, v71, s7, -v66
	v_add_f32_e32 v2, v2, v0
	v_mov_b32_e32 v0, v72
	v_mul_f32_e32 v73, 0x3e903f40, v48
	v_add_f32_e32 v3, v3, v1
	v_fmac_f32_e32 v0, 0xbe11bafb, v33
	v_mov_b32_e32 v1, v73
	v_add_f32_e32 v0, v0, v4
	v_fmac_f32_e32 v1, 0xbf75a155, v36
	v_mul_f32_e32 v74, 0x3f68dda4, v62
	v_add_f32_e32 v0, v1, v0
	v_mov_b32_e32 v1, v74
	v_fmac_f32_e32 v1, 0x3ed4b147, v41
	v_mul_f32_e32 v75, 0xbf0a6770, v70
	v_add_f32_e32 v0, v1, v0
	v_mov_b32_e32 v1, v75
	;; [unrolled: 4-line block ×3, first 2 shown]
	v_fmac_f32_e32 v1, 0xbf27a4f4, v68
	v_mul_f32_e32 v79, 0xbf7d64f0, v45
	v_add_f32_e32 v0, v1, v0
	v_fma_f32 v1, v40, s8, -v79
	v_mul_f32_e32 v80, 0x3e903f40, v46
	v_add_f32_e32 v1, v1, v5
	v_fma_f32 v26, v57, s10, -v80
	;; [unrolled: 3-line block ×5, first 2 shown]
	v_mul_f32_e32 v84, 0xbf4178ce, v38
	v_add_f32_e32 v1, v26, v1
	v_mov_b32_e32 v26, v84
	v_mul_f32_e32 v85, 0x3f7d64f0, v48
	v_fmac_f32_e32 v26, 0xbf27a4f4, v33
	v_mov_b32_e32 v27, v85
	v_add_f32_e32 v26, v26, v4
	v_fmac_f32_e32 v27, 0xbe11bafb, v36
	v_mul_f32_e32 v88, 0xbf4178ce, v45
	v_add_f32_e32 v26, v27, v26
	v_fma_f32 v27, v40, s9, -v88
	v_mul_f32_e32 v89, 0x3f7d64f0, v46
	v_add_f32_e32 v27, v27, v5
	v_fma_f32 v51, v57, s8, -v89
	v_mul_f32_e32 v86, 0xbf0a6770, v62
	v_add_f32_e32 v27, v51, v27
	v_mov_b32_e32 v51, v86
	v_fmac_f32_e32 v51, 0x3f575c64, v41
	v_mul_f32_e32 v91, 0xbf0a6770, v55
	v_add_f32_e32 v26, v51, v26
	v_fma_f32 v51, v69, s7, -v91
	v_mul_f32_e32 v87, 0xbe903f40, v70
	v_add_f32_e32 v27, v51, v27
	v_mov_b32_e32 v51, v87
	v_fmac_f32_e32 v51, 0xbf75a155, v54
	v_mul_f32_e32 v92, 0xbe903f40, v65
	v_add_f32_e32 v26, v51, v26
	v_fma_f32 v51, v67, s10, -v92
	v_mul_f32_e32 v90, 0x3f68dda4, v78
	v_add_f32_e32 v27, v51, v27
	v_mov_b32_e32 v51, v90
	v_mul_f32_e32 v93, 0x3f68dda4, v76
	v_fmac_f32_e32 v51, 0x3ed4b147, v68
	v_fma_f32 v94, v71, s6, -v93
	v_add_f32_e32 v26, v51, v26
	v_add_f32_e32 v27, v94, v27
	v_mul_lo_u16_e32 v51, 11, v50
	s_waitcnt lgkmcnt(0)
	; wave barrier
	s_and_saveexec_b64 s[4:5], vcc
	s_cbranch_execz .LBB0_7
; %bb.6:
	v_mul_f32_e32 v97, 0x3f575c64, v40
	v_mul_f32_e32 v99, 0x3ed4b147, v40
	;; [unrolled: 1-line block ×9, first 2 shown]
	v_mov_b32_e32 v94, v40
	v_mul_f32_e32 v57, 0x3f575c64, v57
	v_fmac_f32_e32 v94, 0x3e903f40, v45
	v_mov_b32_e32 v95, v57
	v_mul_f32_e32 v113, 0xbe11bafb, v69
	v_mul_f32_e32 v115, 0xbf75a155, v69
	;; [unrolled: 1-line block ×4, first 2 shown]
	v_add_f32_e32 v94, v94, v5
	v_fmac_f32_e32 v95, 0xbf0a6770, v46
	v_mul_f32_e32 v69, 0xbf27a4f4, v69
	v_add_f32_e32 v94, v95, v94
	v_mov_b32_e32 v95, v69
	v_fmac_f32_e32 v95, 0x3f4178ce, v55
	v_mul_f32_e32 v121, 0x3ed4b147, v67
	v_add_f32_e32 v94, v95, v94
	v_mov_b32_e32 v95, v121
	;; [unrolled: 4-line block ×3, first 2 shown]
	v_fmac_f32_e32 v95, 0x3f7d64f0, v76
	v_mul_f32_e32 v38, 0xbe903f40, v38
	v_fmac_f32_e32 v40, 0xbe903f40, v45
	v_add_f32_e32 v95, v95, v94
	v_mov_b32_e32 v94, v38
	v_mul_f32_e32 v48, 0x3f0a6770, v48
	v_fmac_f32_e32 v57, 0x3f0a6770, v46
	v_add_f32_e32 v40, v40, v5
	v_fmac_f32_e32 v94, 0xbf75a155, v33
	v_mov_b32_e32 v123, v48
	v_add_f32_e32 v40, v57, v40
	v_fmac_f32_e32 v69, 0xbf4178ce, v55
	v_mul_f32_e32 v96, 0x3f575c64, v33
	v_mul_f32_e32 v98, 0x3ed4b147, v33
	;; [unrolled: 1-line block ×4, first 2 shown]
	v_add_f32_e32 v94, v94, v4
	v_fmac_f32_e32 v123, 0x3f575c64, v36
	v_mul_f32_e32 v62, 0xbf4178ce, v62
	v_add_f32_e32 v40, v69, v40
	v_fmac_f32_e32 v121, 0x3f68dda4, v65
	v_fma_f32 v33, v33, s10, -v38
	v_mul_f32_e32 v104, 0x3ed4b147, v36
	v_mul_f32_e32 v106, 0xbf27a4f4, v36
	v_mul_f32_e32 v108, 0xbf75a155, v36
	v_mul_f32_e32 v110, 0xbe11bafb, v36
	v_add_f32_e32 v94, v123, v94
	v_mov_b32_e32 v123, v62
	v_add_f32_e32 v40, v121, v40
	v_fmac_f32_e32 v122, 0xbf7d64f0, v76
	v_fma_f32 v36, v36, s7, -v48
	v_add_f32_e32 v33, v33, v4
	v_fmac_f32_e32 v123, 0xbf27a4f4, v41
	v_mul_f32_e32 v70, 0x3f68dda4, v70
	v_add_f32_e32 v33, v36, v33
	v_add_f32_e32 v46, v122, v40
	v_fma_f32 v40, v41, s9, -v62
	v_add_f32_e32 v94, v123, v94
	v_mov_b32_e32 v123, v70
	v_mul_f32_e32 v78, 0xbf7d64f0, v78
	v_add_f32_e32 v33, v40, v33
	v_fma_f32 v40, v54, s6, -v70
	v_fmac_f32_e32 v123, 0x3ed4b147, v54
	v_add_f32_e32 v33, v40, v33
	v_fma_f32 v40, v68, s8, -v78
	v_add_f32_e32 v94, v123, v94
	v_mov_b32_e32 v123, v78
	v_add_f32_e32 v45, v40, v33
	v_add_f32_e32 v33, v88, v103
	v_fmac_f32_e32 v123, 0xbe11bafb, v68
	v_add_f32_e32 v33, v33, v5
	v_add_f32_e32 v40, v89, v111
	;; [unrolled: 1-line block ×3, first 2 shown]
	v_mul_f32_e32 v123, 0xbf27a4f4, v67
	v_mul_f32_e32 v125, 0xbe11bafb, v67
	;; [unrolled: 1-line block ×4, first 2 shown]
	v_add_f32_e32 v33, v40, v33
	v_add_f32_e32 v40, v91, v119
	v_mul_f32_e32 v65, 0xbf75a155, v71
	v_mul_f32_e32 v76, 0x3f575c64, v71
	;; [unrolled: 1-line block ×4, first 2 shown]
	v_add_f32_e32 v33, v40, v33
	v_add_f32_e32 v40, v92, v67
	;; [unrolled: 1-line block ×4, first 2 shown]
	v_mul_f32_e32 v112, 0xbe11bafb, v41
	v_mul_f32_e32 v114, 0xbf75a155, v41
	;; [unrolled: 1-line block ×4, first 2 shown]
	v_add_f32_e32 v41, v40, v33
	v_sub_f32_e32 v33, v102, v84
	v_add_f32_e32 v33, v33, v4
	v_sub_f32_e32 v40, v110, v85
	v_mul_f32_e32 v55, 0xbf75a155, v54
	v_add_f32_e32 v33, v40, v33
	v_sub_f32_e32 v40, v118, v86
	v_mul_f32_e32 v36, 0x3ed4b147, v68
	v_add_f32_e32 v33, v40, v33
	v_sub_f32_e32 v40, v55, v87
	v_add_f32_e32 v33, v40, v33
	v_sub_f32_e32 v36, v36, v90
	v_add_f32_e32 v40, v36, v33
	v_add_f32_e32 v33, v79, v101
	;; [unrolled: 1-line block ×11, first 2 shown]
	v_sub_f32_e32 v33, v100, v72
	v_add_f32_e32 v33, v33, v4
	v_sub_f32_e32 v36, v108, v73
	v_mul_f32_e32 v126, 0x3f575c64, v54
	v_add_f32_e32 v33, v36, v33
	v_sub_f32_e32 v36, v116, v74
	v_mul_f32_e32 v38, 0xbf27a4f4, v68
	v_add_f32_e32 v33, v36, v33
	v_sub_f32_e32 v36, v126, v75
	v_add_f32_e32 v33, v36, v33
	v_sub_f32_e32 v36, v38, v77
	v_mul_f32_e32 v120, 0xbf27a4f4, v54
	v_mul_f32_e32 v124, 0xbe11bafb, v54
	v_add_f32_e32 v54, v36, v33
	v_add_f32_e32 v33, v59, v99
	v_add_f32_e32 v33, v33, v5
	v_add_f32_e32 v36, v60, v107
	v_add_f32_e32 v33, v36, v33
	v_add_f32_e32 v36, v63, v115
	v_add_f32_e32 v33, v36, v33
	v_add_f32_e32 v36, v64, v125
	v_add_f32_e32 v33, v36, v33
	v_add_f32_e32 v36, v66, v76
	v_add_f32_e32 v57, v36, v33
	v_sub_f32_e32 v33, v98, v52
	v_add_f32_e32 v30, v30, v97
	v_sub_f32_e32 v28, v96, v28
	v_add_f32_e32 v33, v33, v4
	v_add_f32_e32 v30, v30, v5
	;; [unrolled: 1-line block ×14, first 2 shown]
	v_sub_f32_e32 v29, v104, v29
	v_add_f32_e32 v5, v9, v5
	v_add_f32_e32 v4, v8, v4
	v_sub_f32_e32 v36, v106, v53
	v_add_f32_e32 v30, v31, v30
	v_add_f32_e32 v31, v34, v113
	;; [unrolled: 1-line block ×3, first 2 shown]
	v_sub_f32_e32 v29, v112, v32
	v_add_f32_e32 v5, v11, v5
	v_add_f32_e32 v4, v10, v4
	v_mul_f32_e32 v69, 0xbf75a155, v68
	v_add_f32_e32 v33, v36, v33
	v_sub_f32_e32 v36, v114, v56
	v_add_f32_e32 v30, v31, v30
	v_add_f32_e32 v31, v37, v123
	;; [unrolled: 1-line block ×3, first 2 shown]
	v_sub_f32_e32 v29, v120, v35
	v_add_f32_e32 v5, v21, v5
	v_add_f32_e32 v4, v20, v4
	v_mul_f32_e32 v121, 0x3f575c64, v68
	v_add_f32_e32 v33, v36, v33
	v_sub_f32_e32 v36, v124, v58
	v_add_f32_e32 v30, v31, v30
	v_add_f32_e32 v31, v47, v65
	v_add_f32_e32 v28, v29, v28
	v_sub_f32_e32 v29, v69, v39
	v_add_f32_e32 v5, v23, v5
	v_add_f32_e32 v4, v22, v4
	v_add_f32_e32 v33, v36, v33
	v_sub_f32_e32 v36, v121, v61
	v_add_f32_e32 v30, v31, v30
	v_add_f32_e32 v29, v29, v28
	v_add_f32_e32 v5, v25, v5
	v_add_f32_e32 v4, v24, v4
	v_lshlrev_b32_e32 v6, 3, v51
	v_add_f32_e32 v56, v36, v33
	ds_write2_b64 v6, v[4:5], v[29:30] offset1:1
	ds_write2_b64 v6, v[56:57], v[54:55] offset0:2 offset1:3
	ds_write2_b64 v6, v[40:41], v[45:46] offset0:4 offset1:5
	;; [unrolled: 1-line block ×4, first 2 shown]
	ds_write_b64 v6, v[43:44] offset:80
.LBB0_7:
	s_or_b64 exec, exec, s[4:5]
	s_load_dwordx4 s[4:7], s[0:1], 0x0
	s_movk_i32 s0, 0x75
	v_mul_lo_u16_sdwa v4, v50, s0 dst_sel:DWORD dst_unused:UNUSED_PAD src0_sel:BYTE_0 src1_sel:DWORD
	v_sub_u16_sdwa v5, v50, v4 dst_sel:DWORD dst_unused:UNUSED_PAD src0_sel:DWORD src1_sel:BYTE_1
	v_lshrrev_b16_e32 v5, 1, v5
	v_and_b32_e32 v5, 0x7f, v5
	v_add_u16_sdwa v4, v5, v4 dst_sel:DWORD dst_unused:UNUSED_PAD src0_sel:DWORD src1_sel:BYTE_1
	v_lshrrev_b16_e32 v32, 3, v4
	v_mul_lo_u16_e32 v4, 11, v32
	v_sub_u16_e32 v4, v50, v4
	v_and_b32_e32 v33, 0xff, v4
	v_mul_u32_u24_e32 v4, 6, v33
	v_lshlrev_b32_e32 v16, 3, v4
	s_waitcnt lgkmcnt(0)
	; wave barrier
	s_waitcnt lgkmcnt(0)
	global_load_dwordx4 v[12:15], v16, s[2:3]
	global_load_dwordx4 v[8:11], v16, s[2:3] offset:16
	global_load_dwordx4 v[4:7], v16, s[2:3] offset:32
	ds_read2_b64 v[16:19], v49 offset1:44
	ds_read2_b64 v[20:23], v49 offset0:88 offset1:132
	ds_read2_b64 v[28:31], v49 offset0:176 offset1:220
	ds_read_b64 v[24:25], v49 offset:2112
	s_mov_b32 s1, 0x3f3bfb3b
	s_mov_b32 s8, 0xbf3bfb3b
	;; [unrolled: 1-line block ×3, first 2 shown]
	v_mul_u32_u24_e32 v32, 0x4d, v32
	v_add_lshl_u32 v52, v32, v33, 3
	s_waitcnt lgkmcnt(0)
	; wave barrier
	s_waitcnt vmcnt(2) lgkmcnt(0)
	v_mul_f32_e32 v34, v19, v13
	v_mul_f32_e32 v35, v18, v13
	;; [unrolled: 1-line block ×4, first 2 shown]
	s_waitcnt vmcnt(1)
	v_mul_f32_e32 v38, v23, v9
	v_mul_f32_e32 v39, v22, v9
	s_waitcnt vmcnt(0)
	v_mul_f32_e32 v45, v31, v5
	v_mul_f32_e32 v46, v30, v5
	;; [unrolled: 1-line block ×6, first 2 shown]
	v_fma_f32 v18, v18, v12, -v34
	v_fmac_f32_e32 v35, v19, v12
	v_fma_f32 v19, v20, v14, -v36
	v_fmac_f32_e32 v37, v21, v14
	;; [unrolled: 2-line block ×6, first 2 shown]
	v_add_f32_e32 v24, v18, v23
	v_add_f32_e32 v25, v35, v48
	;; [unrolled: 1-line block ×4, first 2 shown]
	v_sub_f32_e32 v18, v18, v23
	v_sub_f32_e32 v23, v35, v48
	v_add_f32_e32 v30, v20, v21
	v_add_f32_e32 v31, v39, v41
	;; [unrolled: 1-line block ×4, first 2 shown]
	v_sub_f32_e32 v19, v19, v22
	v_sub_f32_e32 v22, v37, v46
	;; [unrolled: 1-line block ×10, first 2 shown]
	v_add_f32_e32 v30, v30, v34
	v_add_f32_e32 v31, v31, v35
	;; [unrolled: 1-line block ×4, first 2 shown]
	v_sub_f32_e32 v40, v20, v19
	v_sub_f32_e32 v41, v21, v22
	v_mul_f32_e32 v24, 0x3f4a47b2, v24
	v_mul_f32_e32 v25, 0x3f4a47b2, v25
	;; [unrolled: 1-line block ×4, first 2 shown]
	v_add_f32_e32 v16, v16, v30
	v_add_f32_e32 v17, v17, v31
	v_sub_f32_e32 v20, v18, v20
	v_sub_f32_e32 v21, v23, v21
	v_sub_f32_e32 v19, v19, v18
	v_sub_f32_e32 v22, v22, v23
	v_add_f32_e32 v18, v38, v18
	v_add_f32_e32 v23, v39, v23
	v_mul_f32_e32 v38, 0xbf08b237, v40
	v_mul_f32_e32 v39, 0xbf08b237, v41
	v_fma_f32 v34, v36, s1, -v34
	v_fma_f32 v35, v37, s1, -v35
	;; [unrolled: 1-line block ×3, first 2 shown]
	v_fmac_f32_e32 v24, 0x3d64c772, v28
	v_fma_f32 v28, v37, s8, -v25
	v_mov_b32_e32 v37, v16
	v_mov_b32_e32 v45, v17
	v_mul_f32_e32 v40, 0x3f5ff5aa, v19
	v_mul_f32_e32 v41, 0x3f5ff5aa, v22
	v_fmac_f32_e32 v37, 0xbf955555, v30
	v_fmac_f32_e32 v45, 0xbf955555, v31
	;; [unrolled: 1-line block ×3, first 2 shown]
	v_fma_f32 v29, v19, s0, -v38
	v_fmac_f32_e32 v38, 0x3eae86e6, v20
	v_fma_f32 v30, v22, s0, -v39
	v_fmac_f32_e32 v39, 0x3eae86e6, v21
	s_mov_b32 s0, 0xbeae86e6
	v_fma_f32 v31, v20, s0, -v40
	v_fma_f32 v40, v21, s0, -v41
	v_add_f32_e32 v24, v24, v37
	v_add_f32_e32 v25, v25, v45
	v_fmac_f32_e32 v38, 0x3ee1c552, v18
	v_fmac_f32_e32 v39, 0x3ee1c552, v23
	v_add_f32_e32 v34, v34, v37
	v_add_f32_e32 v35, v35, v45
	;; [unrolled: 1-line block ×4, first 2 shown]
	v_fmac_f32_e32 v29, 0x3ee1c552, v18
	v_fmac_f32_e32 v30, 0x3ee1c552, v23
	;; [unrolled: 1-line block ×4, first 2 shown]
	v_add_f32_e32 v18, v39, v24
	v_sub_f32_e32 v19, v25, v38
	v_add_f32_e32 v20, v40, v36
	v_sub_f32_e32 v21, v37, v31
	v_sub_f32_e32 v22, v34, v30
	v_add_f32_e32 v23, v29, v35
	v_add_f32_e32 v28, v30, v34
	v_sub_f32_e32 v29, v35, v29
	v_sub_f32_e32 v30, v36, v40
	v_add_f32_e32 v31, v31, v37
	v_sub_f32_e32 v24, v24, v39
	v_add_f32_e32 v25, v38, v25
	ds_write2_b64 v52, v[16:17], v[18:19] offset1:11
	ds_write2_b64 v52, v[20:21], v[22:23] offset0:22 offset1:33
	ds_write2_b64 v52, v[28:29], v[30:31] offset0:44 offset1:55
	ds_write_b64 v52, v[24:25] offset:528
	s_waitcnt lgkmcnt(0)
	; wave barrier
	s_waitcnt lgkmcnt(0)
	ds_read2_b64 v[32:35], v49 offset1:77
	ds_read2_b64 v[36:39], v49 offset0:154 offset1:231
	v_cmp_gt_u16_e64 s[0:1], 33, v50
	s_and_saveexec_b64 s[8:9], s[0:1]
	s_cbranch_execz .LBB0_9
; %bb.8:
	v_add_u32_e32 v16, 0x400, v49
	ds_read2_b64 v[28:31], v49 offset0:44 offset1:121
	ds_read2_b64 v[24:27], v16 offset0:70 offset1:147
.LBB0_9:
	s_or_b64 exec, exec, s[8:9]
	v_mad_u64_u32 v[16:17], s[8:9], v50, 24, s[2:3]
	v_add_u32_e32 v18, 44, v50
	global_load_dwordx2 v[47:48], v[16:17], off offset:544
	global_load_dwordx4 v[20:23], v[16:17], off offset:528
	v_subrev_u32_e32 v16, 33, v50
	v_cndmask_b32_e64 v16, v16, v18, s[0:1]
	v_mul_hi_i32_i24_e32 v17, 24, v16
	v_mul_i32_i24_e32 v16, 24, v16
	v_mov_b32_e32 v18, s3
	v_add_co_u32_e64 v40, s[2:3], s2, v16
	v_addc_co_u32_e64 v41, s[2:3], v18, v17, s[2:3]
	global_load_dwordx4 v[16:19], v[40:41], off offset:528
	global_load_dwordx2 v[45:46], v[40:41], off offset:544
	s_waitcnt vmcnt(3) lgkmcnt(0)
	v_mul_f32_e32 v55, v39, v48
	s_waitcnt vmcnt(2)
	v_mul_f32_e32 v40, v35, v21
	v_mul_f32_e32 v41, v34, v21
	;; [unrolled: 1-line block ×5, first 2 shown]
	v_fma_f32 v34, v34, v20, -v40
	v_fmac_f32_e32 v41, v35, v20
	v_fma_f32 v35, v36, v22, -v53
	v_fmac_f32_e32 v54, v37, v22
	s_waitcnt vmcnt(1)
	v_mul_f32_e32 v57, v31, v17
	v_mul_f32_e32 v58, v30, v17
	;; [unrolled: 1-line block ×4, first 2 shown]
	s_waitcnt vmcnt(0)
	v_mul_f32_e32 v61, v27, v46
	v_mul_f32_e32 v62, v26, v46
	v_fma_f32 v36, v38, v47, -v55
	v_fmac_f32_e32 v56, v39, v47
	v_fma_f32 v37, v30, v16, -v57
	v_fmac_f32_e32 v58, v31, v16
	;; [unrolled: 2-line block ×4, first 2 shown]
	v_sub_f32_e32 v26, v32, v35
	v_sub_f32_e32 v27, v33, v54
	;; [unrolled: 1-line block ×8, first 2 shown]
	v_fma_f32 v32, v32, 2.0, -v26
	v_fma_f32 v33, v33, 2.0, -v27
	;; [unrolled: 1-line block ×8, first 2 shown]
	v_sub_f32_e32 v30, v26, v30
	v_add_f32_e32 v31, v27, v31
	v_sub_f32_e32 v36, v24, v35
	v_add_f32_e32 v37, v38, v25
	v_sub_f32_e32 v28, v32, v34
	v_sub_f32_e32 v29, v33, v39
	;; [unrolled: 1-line block ×4, first 2 shown]
	v_fma_f32 v26, v26, 2.0, -v30
	v_fma_f32 v27, v27, 2.0, -v31
	;; [unrolled: 1-line block ×8, first 2 shown]
	ds_write2_b64 v49, v[24:25], v[26:27] offset1:77
	ds_write2_b64 v49, v[28:29], v[30:31] offset0:154 offset1:231
	s_and_saveexec_b64 s[2:3], s[0:1]
	s_cbranch_execz .LBB0_11
; %bb.10:
	v_add_u32_e32 v32, 0x400, v49
	ds_write2_b64 v49, v[38:39], v[40:41] offset0:44 offset1:121
	ds_write2_b64 v32, v[34:35], v[36:37] offset0:70 offset1:147
.LBB0_11:
	s_or_b64 exec, exec, s[2:3]
	s_waitcnt lgkmcnt(0)
	; wave barrier
	s_waitcnt lgkmcnt(0)
	s_and_saveexec_b64 s[2:3], vcc
	s_cbranch_execz .LBB0_13
; %bb.12:
	global_load_dwordx2 v[32:33], v49, s[12:13] offset:2464
	s_add_u32 s8, s12, 0x9a0
	s_addc_u32 s9, s13, 0
	global_load_dwordx2 v[73:74], v49, s[8:9] offset:224
	global_load_dwordx2 v[75:76], v49, s[8:9] offset:448
	;; [unrolled: 1-line block ×10, first 2 shown]
	ds_read_b64 v[53:54], v49
	v_add_u32_e32 v93, 0x400, v49
	s_waitcnt vmcnt(10) lgkmcnt(0)
	v_mul_f32_e32 v55, v54, v33
	v_mul_f32_e32 v56, v53, v33
	v_fma_f32 v55, v53, v32, -v55
	v_fmac_f32_e32 v56, v54, v32
	ds_write_b64 v49, v[55:56]
	ds_read2_b64 v[53:56], v49 offset0:28 offset1:56
	ds_read2_b64 v[57:60], v49 offset0:84 offset1:112
	;; [unrolled: 1-line block ×5, first 2 shown]
	s_waitcnt vmcnt(9) lgkmcnt(4)
	v_mul_f32_e32 v32, v54, v74
	v_mul_f32_e32 v33, v53, v74
	s_waitcnt vmcnt(8)
	v_mul_f32_e32 v94, v56, v76
	v_mul_f32_e32 v74, v55, v76
	s_waitcnt vmcnt(7) lgkmcnt(3)
	v_mul_f32_e32 v95, v58, v78
	v_mul_f32_e32 v76, v57, v78
	s_waitcnt vmcnt(6)
	v_mul_f32_e32 v96, v60, v80
	v_mul_f32_e32 v78, v59, v80
	;; [unrolled: 6-line block ×5, first 2 shown]
	v_fma_f32 v32, v53, v73, -v32
	v_fmac_f32_e32 v33, v54, v73
	v_fma_f32 v73, v55, v75, -v94
	v_fmac_f32_e32 v74, v56, v75
	;; [unrolled: 2-line block ×10, first 2 shown]
	ds_write2_b64 v49, v[32:33], v[73:74] offset0:28 offset1:56
	ds_write2_b64 v49, v[75:76], v[77:78] offset0:84 offset1:112
	;; [unrolled: 1-line block ×5, first 2 shown]
.LBB0_13:
	s_or_b64 exec, exec, s[2:3]
	s_waitcnt lgkmcnt(0)
	; wave barrier
	s_waitcnt lgkmcnt(0)
	s_and_saveexec_b64 s[2:3], vcc
	s_cbranch_execz .LBB0_15
; %bb.14:
	ds_read2_b64 v[24:27], v49 offset1:28
	ds_read2_b64 v[28:31], v49 offset0:56 offset1:84
	ds_read2_b64 v[38:41], v49 offset0:112 offset1:140
	;; [unrolled: 1-line block ×4, first 2 shown]
	ds_read_b64 v[43:44], v49 offset:2240
.LBB0_15:
	s_or_b64 exec, exec, s[2:3]
	s_waitcnt lgkmcnt(0)
	v_sub_f32_e32 v63, v27, v44
	v_add_f32_e32 v53, v43, v26
	v_add_f32_e32 v66, v44, v27
	s_mov_b32 s8, 0xbf27a4f4
	v_mul_f32_e32 v73, 0xbf4178ce, v63
	v_sub_f32_e32 v64, v29, v3
	v_mul_f32_e32 v75, 0xbf27a4f4, v66
	v_fma_f32 v32, v53, s8, -v73
	v_add_f32_e32 v54, v2, v28
	v_add_f32_e32 v68, v3, v29
	s_mov_b32 s9, 0xbe11bafb
	v_mul_f32_e32 v74, 0x3f7d64f0, v64
	v_sub_f32_e32 v55, v26, v43
	v_add_f32_e32 v32, v24, v32
	v_mov_b32_e32 v33, v75
	v_mul_f32_e32 v77, 0xbe11bafb, v68
	v_fma_f32 v56, v54, s9, -v74
	v_fmac_f32_e32 v33, 0xbf4178ce, v55
	v_sub_f32_e32 v57, v28, v2
	v_add_f32_e32 v32, v56, v32
	v_mov_b32_e32 v56, v77
	v_add_f32_e32 v33, v25, v33
	v_fmac_f32_e32 v56, 0x3f7d64f0, v57
	v_sub_f32_e32 v65, v31, v1
	v_add_f32_e32 v33, v56, v33
	v_add_f32_e32 v56, v0, v30
	v_add_f32_e32 v70, v1, v31
	s_mov_b32 s10, 0x3f575c64
	v_mul_f32_e32 v76, 0xbf0a6770, v65
	v_mul_f32_e32 v79, 0x3f575c64, v70
	v_fma_f32 v58, v56, s10, -v76
	v_sub_f32_e32 v59, v30, v0
	v_add_f32_e32 v32, v58, v32
	v_mov_b32_e32 v58, v79
	v_fmac_f32_e32 v58, 0xbf0a6770, v59
	v_sub_f32_e32 v67, v39, v37
	v_add_f32_e32 v33, v58, v33
	v_add_f32_e32 v58, v36, v38
	v_add_f32_e32 v71, v37, v39
	s_mov_b32 s11, 0xbf75a155
	v_mul_f32_e32 v78, 0xbe903f40, v67
	v_mul_f32_e32 v81, 0xbf75a155, v71
	v_fma_f32 v60, v58, s11, -v78
	v_sub_f32_e32 v61, v38, v36
	v_add_f32_e32 v32, v60, v32
	v_mov_b32_e32 v60, v81
	;; [unrolled: 12-line block ×3, first 2 shown]
	v_fmac_f32_e32 v83, 0x3f68dda4, v62
	v_add_f32_e32 v33, v83, v33
	s_waitcnt lgkmcnt(0)
	; wave barrier
	s_and_saveexec_b64 s[2:3], vcc
	s_cbranch_execz .LBB0_17
; %bb.16:
	v_mul_f32_e32 v87, 0xbf27a4f4, v53
	v_mul_f32_e32 v89, 0xbe11bafb, v54
	v_add_f32_e32 v73, v87, v73
	v_mul_f32_e32 v88, 0xbf4178ce, v55
	v_mul_f32_e32 v91, 0x3f575c64, v56
	v_add_f32_e32 v73, v24, v73
	v_add_f32_e32 v74, v89, v74
	v_mul_f32_e32 v90, 0x3f7d64f0, v57
	v_mul_f32_e32 v93, 0xbf75a155, v58
	v_sub_f32_e32 v75, v75, v88
	v_add_f32_e32 v73, v74, v73
	v_add_f32_e32 v74, v91, v76
	v_mul_f32_e32 v92, 0xbf0a6770, v59
	v_mul_f32_e32 v95, 0x3ed4b147, v60
	v_add_f32_e32 v75, v25, v75
	v_sub_f32_e32 v77, v77, v90
	v_add_f32_e32 v73, v74, v73
	v_add_f32_e32 v74, v93, v78
	v_mul_f32_e32 v94, 0xbe903f40, v61
	v_add_f32_e32 v75, v77, v75
	v_sub_f32_e32 v77, v79, v92
	v_add_f32_e32 v73, v74, v73
	v_add_f32_e32 v74, v95, v80
	v_mul_f32_e32 v96, 0x3f68dda4, v62
	v_add_f32_e32 v75, v77, v75
	v_sub_f32_e32 v77, v81, v94
	v_add_f32_e32 v74, v74, v73
	v_mul_f32_e32 v73, 0xbe11bafb, v66
	v_add_f32_e32 v75, v77, v75
	v_sub_f32_e32 v77, v82, v96
	v_mov_b32_e32 v76, v73
	v_mul_f32_e32 v80, 0xbf75a155, v68
	v_add_f32_e32 v75, v77, v75
	v_fmac_f32_e32 v76, 0x3f7d64f0, v55
	v_mov_b32_e32 v77, v80
	v_add_f32_e32 v76, v25, v76
	v_fmac_f32_e32 v77, 0xbe903f40, v57
	v_mul_f32_e32 v81, 0x3ed4b147, v70
	v_add_f32_e32 v76, v77, v76
	v_mov_b32_e32 v77, v81
	v_fmac_f32_e32 v77, 0xbf68dda4, v59
	v_mul_f32_e32 v82, 0x3f575c64, v71
	v_add_f32_e32 v76, v77, v76
	v_mov_b32_e32 v77, v82
	;; [unrolled: 4-line block ×4, first 2 shown]
	v_mul_f32_e32 v89, 0x3e903f40, v64
	v_fmac_f32_e32 v76, 0xbe11bafb, v53
	v_mov_b32_e32 v78, v89
	v_add_f32_e32 v76, v24, v76
	v_fmac_f32_e32 v78, 0xbf75a155, v54
	v_mul_f32_e32 v90, 0x3f68dda4, v65
	v_add_f32_e32 v76, v78, v76
	v_mov_b32_e32 v78, v90
	v_fmac_f32_e32 v78, 0x3ed4b147, v56
	v_mul_f32_e32 v91, 0xbf0a6770, v67
	v_add_f32_e32 v76, v78, v76
	v_mov_b32_e32 v78, v91
	;; [unrolled: 4-line block ×3, first 2 shown]
	v_mul_f32_e32 v85, 0xbe903f40, v55
	v_fmac_f32_e32 v78, 0xbf27a4f4, v60
	v_mul_f32_e32 v93, 0x3ed4b147, v66
	v_mov_b32_e32 v83, v85
	v_mul_f32_e32 v86, 0x3f0a6770, v57
	v_add_f32_e32 v76, v78, v76
	v_mov_b32_e32 v78, v93
	v_mul_f32_e32 v94, 0xbf27a4f4, v68
	v_fmac_f32_e32 v83, 0xbf75a155, v66
	v_mov_b32_e32 v84, v86
	v_fmac_f32_e32 v78, 0x3f68dda4, v55
	v_mov_b32_e32 v79, v94
	v_add_f32_e32 v83, v25, v83
	v_fmac_f32_e32 v84, 0x3f575c64, v68
	v_mul_f32_e32 v97, 0xbf4178ce, v59
	v_add_f32_e32 v78, v25, v78
	v_fmac_f32_e32 v79, 0x3f4178ce, v57
	v_mul_f32_e32 v95, 0xbf75a155, v70
	v_add_f32_e32 v27, v27, v25
	v_add_f32_e32 v83, v84, v83
	v_mov_b32_e32 v84, v97
	v_add_f32_e32 v78, v79, v78
	v_mov_b32_e32 v79, v95
	v_add_f32_e32 v27, v29, v27
	v_fmac_f32_e32 v84, 0xbf27a4f4, v70
	v_mul_f32_e32 v98, 0x3f68dda4, v61
	v_fma_f32 v85, v66, s11, -v85
	v_fmac_f32_e32 v79, 0xbe903f40, v59
	v_mul_f32_e32 v96, 0xbe11bafb, v71
	v_add_f32_e32 v27, v31, v27
	v_add_f32_e32 v83, v84, v83
	v_mov_b32_e32 v84, v98
	v_add_f32_e32 v85, v25, v85
	v_fma_f32 v86, v68, s10, -v86
	v_add_f32_e32 v78, v79, v78
	v_mov_b32_e32 v79, v96
	v_add_f32_e32 v27, v39, v27
	v_fmac_f32_e32 v84, 0x3ed4b147, v71
	v_mul_f32_e32 v99, 0xbf7d64f0, v62
	v_add_f32_e32 v85, v86, v85
	v_fma_f32 v86, v70, s8, -v97
	v_fmac_f32_e32 v79, 0xbf7d64f0, v61
	v_mul_f32_e32 v97, 0x3f575c64, v72
	v_add_f32_e32 v27, v41, v27
	v_add_f32_e32 v83, v84, v83
	v_mov_b32_e32 v84, v99
	v_add_f32_e32 v78, v79, v78
	v_mov_b32_e32 v79, v97
	v_add_f32_e32 v27, v35, v27
	v_fmac_f32_e32 v84, 0xbe11bafb, v72
	v_mul_f32_e32 v100, 0xbe903f40, v63
	v_add_f32_e32 v85, v86, v85
	v_fma_f32 v86, v71, s16, -v98
	v_fmac_f32_e32 v79, 0xbf0a6770, v62
	v_mul_f32_e32 v98, 0xbf68dda4, v63
	v_add_f32_e32 v27, v37, v27
	v_add_f32_e32 v84, v84, v83
	v_fma_f32 v83, v53, s11, -v100
	v_add_f32_e32 v85, v86, v85
	v_fma_f32 v86, v72, s9, -v99
	v_fmac_f32_e32 v100, 0xbf75a155, v53
	v_add_f32_e32 v79, v79, v78
	v_mov_b32_e32 v78, v98
	v_mul_f32_e32 v99, 0xbf4178ce, v64
	v_add_f32_e32 v1, v1, v27
	v_add_f32_e32 v86, v86, v85
	;; [unrolled: 1-line block ×3, first 2 shown]
	v_fmac_f32_e32 v78, 0x3ed4b147, v53
	v_mov_b32_e32 v100, v99
	v_add_f32_e32 v1, v3, v1
	v_add_f32_e32 v3, v26, v24
	v_mul_f32_e32 v101, 0x3f0a6770, v64
	v_add_f32_e32 v78, v24, v78
	v_fmac_f32_e32 v100, 0xbf27a4f4, v54
	v_add_f32_e32 v3, v28, v3
	v_fma_f32 v102, v54, s10, -v101
	v_fmac_f32_e32 v101, 0x3f575c64, v54
	v_add_f32_e32 v78, v100, v78
	v_mul_f32_e32 v100, 0x3e903f40, v65
	v_add_f32_e32 v3, v30, v3
	v_add_f32_e32 v83, v24, v83
	;; [unrolled: 1-line block ×3, first 2 shown]
	v_mov_b32_e32 v101, v100
	v_add_f32_e32 v3, v38, v3
	v_add_f32_e32 v83, v102, v83
	v_mul_f32_e32 v102, 0xbf4178ce, v65
	v_fmac_f32_e32 v101, 0xbf75a155, v56
	v_add_f32_e32 v3, v40, v3
	v_fma_f32 v103, v56, s8, -v102
	v_fmac_f32_e32 v102, 0xbf27a4f4, v56
	v_add_f32_e32 v78, v101, v78
	v_mul_f32_e32 v101, 0x3f7d64f0, v67
	v_add_f32_e32 v3, v34, v3
	v_add_f32_e32 v85, v102, v85
	v_mov_b32_e32 v102, v101
	v_add_f32_e32 v3, v36, v3
	v_add_f32_e32 v83, v103, v83
	v_mul_f32_e32 v103, 0x3f68dda4, v67
	v_fmac_f32_e32 v102, 0xbe11bafb, v58
	v_add_f32_e32 v0, v0, v3
	v_fmac_f32_e32 v73, 0xbf7d64f0, v55
	v_fma_f32 v104, v58, s16, -v103
	v_fmac_f32_e32 v103, 0x3ed4b147, v58
	v_add_f32_e32 v78, v102, v78
	v_mul_f32_e32 v102, 0x3f0a6770, v69
	v_add_f32_e32 v0, v2, v0
	v_add_f32_e32 v2, v25, v73
	v_fmac_f32_e32 v80, 0x3e903f40, v57
	v_add_f32_e32 v85, v103, v85
	v_mov_b32_e32 v103, v102
	v_add_f32_e32 v2, v80, v2
	v_fmac_f32_e32 v81, 0x3f68dda4, v59
	v_fmac_f32_e32 v103, 0x3f575c64, v60
	v_add_f32_e32 v2, v81, v2
	v_fmac_f32_e32 v82, 0xbf0a6770, v61
	v_add_f32_e32 v83, v104, v83
	v_mul_f32_e32 v104, 0xbf7d64f0, v69
	v_add_f32_e32 v78, v103, v78
	v_mul_f32_e32 v103, 0x3f575c64, v66
	v_add_f32_e32 v2, v82, v2
	v_fmac_f32_e32 v87, 0xbf4178ce, v62
	v_fma_f32 v105, v60, s9, -v104
	v_fmac_f32_e32 v104, 0xbe11bafb, v60
	v_mov_b32_e32 v66, v103
	v_mul_f32_e32 v68, 0x3ed4b147, v68
	v_add_f32_e32 v3, v87, v2
	v_fma_f32 v2, v53, s9, -v88
	v_add_f32_e32 v85, v104, v85
	v_fmac_f32_e32 v66, 0x3f0a6770, v55
	v_mov_b32_e32 v104, v68
	v_add_f32_e32 v2, v24, v2
	v_fma_f32 v26, v54, s11, -v89
	v_add_f32_e32 v66, v25, v66
	v_fmac_f32_e32 v104, 0x3f68dda4, v57
	v_mul_f32_e32 v70, 0xbe11bafb, v70
	v_add_f32_e32 v2, v26, v2
	v_fma_f32 v26, v56, s16, -v90
	v_add_f32_e32 v66, v104, v66
	v_mov_b32_e32 v104, v70
	v_add_f32_e32 v2, v26, v2
	v_fma_f32 v26, v58, s10, -v91
	v_fmac_f32_e32 v104, 0x3f7d64f0, v59
	v_mul_f32_e32 v71, 0xbf27a4f4, v71
	v_add_f32_e32 v2, v26, v2
	v_fma_f32 v26, v60, s8, -v92
	v_fmac_f32_e32 v93, 0xbf68dda4, v55
	v_add_f32_e32 v66, v104, v66
	v_mov_b32_e32 v104, v71
	v_add_f32_e32 v2, v26, v2
	v_add_f32_e32 v26, v25, v93
	v_fmac_f32_e32 v94, 0xbf4178ce, v57
	v_fmac_f32_e32 v104, 0x3f4178ce, v61
	v_mul_f32_e32 v72, 0xbf75a155, v72
	v_add_f32_e32 v26, v94, v26
	v_fmac_f32_e32 v95, 0x3e903f40, v59
	v_add_f32_e32 v66, v104, v66
	v_mov_b32_e32 v104, v72
	v_add_f32_e32 v26, v95, v26
	v_fmac_f32_e32 v96, 0x3f7d64f0, v61
	v_fmac_f32_e32 v104, 0x3e903f40, v62
	v_mul_f32_e32 v63, 0xbf0a6770, v63
	v_add_f32_e32 v26, v96, v26
	v_fmac_f32_e32 v97, 0x3f0a6770, v62
	v_add_f32_e32 v66, v104, v66
	v_mov_b32_e32 v104, v63
	v_mul_f32_e32 v64, 0xbf68dda4, v64
	v_add_f32_e32 v27, v97, v26
	v_fma_f32 v26, v53, s16, -v98
	v_add_f32_e32 v83, v105, v83
	v_fmac_f32_e32 v104, 0x3f575c64, v53
	v_mov_b32_e32 v105, v64
	v_add_f32_e32 v26, v24, v26
	v_fma_f32 v28, v54, s8, -v99
	v_add_f32_e32 v104, v24, v104
	v_fmac_f32_e32 v105, 0x3ed4b147, v54
	v_add_f32_e32 v26, v28, v26
	v_fma_f32 v28, v56, s11, -v100
	v_add_f32_e32 v104, v105, v104
	v_mul_f32_e32 v105, 0xbf7d64f0, v65
	v_add_f32_e32 v26, v28, v26
	v_fma_f32 v28, v58, s9, -v101
	v_mov_b32_e32 v65, v105
	v_add_f32_e32 v26, v28, v26
	v_fma_f32 v28, v60, s10, -v102
	v_fmac_f32_e32 v65, 0xbe11bafb, v56
	v_mul_f32_e32 v67, 0xbf4178ce, v67
	v_add_f32_e32 v26, v28, v26
	v_fma_f32 v28, v53, s10, -v63
	v_add_f32_e32 v65, v65, v104
	v_mov_b32_e32 v104, v67
	v_fmac_f32_e32 v103, 0xbf0a6770, v55
	v_add_f32_e32 v24, v24, v28
	v_fma_f32 v28, v54, s16, -v64
	v_fmac_f32_e32 v104, 0xbf27a4f4, v58
	v_mul_f32_e32 v69, 0xbe903f40, v69
	v_add_f32_e32 v25, v25, v103
	v_fmac_f32_e32 v68, 0xbf68dda4, v57
	v_add_f32_e32 v24, v28, v24
	v_fma_f32 v28, v56, s9, -v105
	v_add_f32_e32 v65, v104, v65
	v_mov_b32_e32 v104, v69
	v_add_f32_e32 v25, v68, v25
	v_fmac_f32_e32 v70, 0xbf7d64f0, v59
	v_add_f32_e32 v24, v28, v24
	v_fma_f32 v28, v58, s8, -v67
	v_fmac_f32_e32 v104, 0xbf75a155, v60
	v_add_f32_e32 v25, v70, v25
	v_fmac_f32_e32 v71, 0xbf4178ce, v61
	v_add_f32_e32 v24, v28, v24
	v_fma_f32 v28, v60, s11, -v69
	v_add_f32_e32 v65, v104, v65
	v_add_f32_e32 v1, v44, v1
	;; [unrolled: 1-line block ×4, first 2 shown]
	v_fmac_f32_e32 v72, 0xbe903f40, v62
	v_add_f32_e32 v24, v28, v24
	v_lshlrev_b32_e32 v28, 3, v51
	v_add_f32_e32 v25, v72, v25
	ds_write2_b64 v28, v[0:1], v[65:66] offset1:1
	ds_write2_b64 v28, v[78:79], v[76:77] offset0:2 offset1:3
	ds_write2_b64 v28, v[74:75], v[85:86] offset0:4 offset1:5
	;; [unrolled: 1-line block ×4, first 2 shown]
	ds_write_b64 v28, v[24:25] offset:80
.LBB0_17:
	s_or_b64 exec, exec, s[2:3]
	s_waitcnt lgkmcnt(0)
	; wave barrier
	s_waitcnt lgkmcnt(0)
	ds_read2_b64 v[0:3], v49 offset1:44
	ds_read2_b64 v[24:27], v49 offset0:88 offset1:132
	ds_read2_b64 v[28:31], v49 offset0:176 offset1:220
	ds_read_b64 v[34:35], v49 offset:2112
	s_mov_b32 s3, 0x3f3bfb3b
	s_waitcnt lgkmcnt(3)
	v_mul_f32_e32 v36, v13, v3
	v_fmac_f32_e32 v36, v12, v2
	v_mul_f32_e32 v2, v13, v2
	s_waitcnt lgkmcnt(2)
	v_mul_f32_e32 v13, v9, v27
	v_mul_f32_e32 v9, v9, v26
	v_fmac_f32_e32 v13, v8, v26
	v_fma_f32 v8, v8, v27, -v9
	s_waitcnt lgkmcnt(1)
	v_mul_f32_e32 v9, v11, v29
	v_mul_f32_e32 v11, v11, v28
	v_fmac_f32_e32 v9, v10, v28
	v_fma_f32 v10, v10, v29, -v11
	v_mul_f32_e32 v11, v5, v31
	v_mul_f32_e32 v5, v5, v30
	v_fma_f32 v2, v12, v3, -v2
	v_mul_f32_e32 v3, v15, v25
	v_fmac_f32_e32 v11, v4, v30
	v_fma_f32 v4, v4, v31, -v5
	s_waitcnt lgkmcnt(0)
	v_mul_f32_e32 v5, v7, v35
	v_mul_f32_e32 v7, v7, v34
	v_fmac_f32_e32 v3, v14, v24
	v_mul_f32_e32 v12, v15, v24
	v_fmac_f32_e32 v5, v6, v34
	v_fma_f32 v6, v6, v35, -v7
	v_fma_f32 v12, v14, v25, -v12
	v_add_f32_e32 v7, v36, v5
	v_add_f32_e32 v14, v2, v6
	v_sub_f32_e32 v2, v2, v6
	v_add_f32_e32 v6, v3, v11
	v_add_f32_e32 v15, v12, v4
	v_sub_f32_e32 v3, v3, v11
	v_sub_f32_e32 v4, v12, v4
	v_add_f32_e32 v11, v13, v9
	v_add_f32_e32 v12, v8, v10
	v_sub_f32_e32 v8, v10, v8
	v_add_f32_e32 v10, v6, v7
	v_sub_f32_e32 v9, v9, v13
	v_add_f32_e32 v13, v15, v14
	v_add_f32_e32 v10, v11, v10
	v_sub_f32_e32 v5, v36, v5
	v_sub_f32_e32 v24, v6, v7
	;; [unrolled: 1-line block ×4, first 2 shown]
	v_add_f32_e32 v26, v9, v3
	v_add_f32_e32 v27, v8, v4
	v_sub_f32_e32 v29, v8, v4
	v_sub_f32_e32 v30, v4, v2
	v_add_f32_e32 v11, v12, v13
	v_add_f32_e32 v4, v0, v10
	v_sub_f32_e32 v25, v15, v14
	v_sub_f32_e32 v14, v14, v12
	;; [unrolled: 1-line block ×6, first 2 shown]
	v_add_f32_e32 v12, v26, v5
	v_add_f32_e32 v5, v1, v11
	v_mul_f32_e32 v26, 0x3f08b237, v29
	v_mov_b32_e32 v29, v4
	v_mul_f32_e32 v0, 0x3f4a47b2, v7
	v_mul_f32_e32 v7, 0x3d64c772, v6
	;; [unrolled: 1-line block ×3, first 2 shown]
	v_fmac_f32_e32 v29, 0xbf955555, v10
	v_mov_b32_e32 v10, v5
	v_mul_f32_e32 v1, 0x3f4a47b2, v14
	v_mul_f32_e32 v14, 0x3f08b237, v28
	s_mov_b32 s2, 0xbf5ff5aa
	v_fmac_f32_e32 v10, 0xbf955555, v11
	v_fma_f32 v7, v24, s3, -v7
	v_fma_f32 v11, v25, s3, -v13
	s_mov_b32 s3, 0xbf3bfb3b
	v_sub_f32_e32 v8, v2, v8
	v_add_f32_e32 v2, v27, v2
	v_mul_f32_e32 v27, 0xbf5ff5aa, v3
	v_mul_f32_e32 v28, 0xbf5ff5aa, v30
	v_fma_f32 v13, v24, s3, -v0
	v_fmac_f32_e32 v0, 0x3d64c772, v6
	v_fma_f32 v6, v25, s3, -v1
	v_fmac_f32_e32 v1, 0x3d64c772, v15
	v_fma_f32 v3, v3, s2, -v14
	v_fma_f32 v15, v30, s2, -v26
	s_mov_b32 s2, 0x3eae86e6
	v_fmac_f32_e32 v14, 0xbeae86e6, v9
	v_fmac_f32_e32 v26, 0xbeae86e6, v8
	v_fma_f32 v24, v9, s2, -v27
	v_fma_f32 v25, v8, s2, -v28
	v_add_f32_e32 v27, v0, v29
	v_add_f32_e32 v28, v1, v10
	;; [unrolled: 1-line block ×6, first 2 shown]
	v_fmac_f32_e32 v14, 0xbee1c552, v12
	v_fmac_f32_e32 v26, 0xbee1c552, v2
	;; [unrolled: 1-line block ×6, first 2 shown]
	v_add_f32_e32 v6, v26, v27
	v_sub_f32_e32 v7, v28, v14
	v_add_f32_e32 v8, v25, v13
	v_sub_f32_e32 v9, v29, v24
	v_sub_f32_e32 v10, v0, v15
	v_add_f32_e32 v11, v3, v1
	v_add_f32_e32 v0, v15, v0
	v_sub_f32_e32 v1, v1, v3
	v_sub_f32_e32 v2, v13, v25
	v_add_f32_e32 v3, v24, v29
	v_sub_f32_e32 v30, v27, v26
	v_add_f32_e32 v31, v14, v28
	s_waitcnt lgkmcnt(0)
	; wave barrier
	ds_write2_b64 v52, v[4:5], v[6:7] offset1:11
	ds_write2_b64 v52, v[8:9], v[10:11] offset0:22 offset1:33
	ds_write2_b64 v52, v[0:1], v[2:3] offset0:44 offset1:55
	ds_write_b64 v52, v[30:31] offset:528
	s_waitcnt lgkmcnt(0)
	; wave barrier
	s_waitcnt lgkmcnt(0)
	ds_read2_b64 v[4:7], v49 offset1:77
	ds_read2_b64 v[8:11], v49 offset0:154 offset1:231
	s_and_saveexec_b64 s[2:3], s[0:1]
	s_cbranch_execz .LBB0_19
; %bb.18:
	v_add_u32_e32 v12, 0x400, v49
	ds_read2_b64 v[0:3], v49 offset0:44 offset1:121
	ds_read2_b64 v[30:33], v12 offset0:70 offset1:147
.LBB0_19:
	s_or_b64 exec, exec, s[2:3]
	s_waitcnt lgkmcnt(1)
	v_mul_f32_e32 v12, v21, v7
	v_fmac_f32_e32 v12, v20, v6
	v_mul_f32_e32 v6, v21, v6
	v_fma_f32 v6, v20, v7, -v6
	s_waitcnt lgkmcnt(0)
	v_mul_f32_e32 v7, v23, v9
	v_fmac_f32_e32 v7, v22, v8
	v_mul_f32_e32 v8, v23, v8
	v_fma_f32 v8, v22, v9, -v8
	v_mul_f32_e32 v9, v48, v11
	v_fmac_f32_e32 v9, v47, v10
	v_mul_f32_e32 v10, v48, v10
	v_fma_f32 v10, v47, v11, -v10
	v_sub_f32_e32 v11, v4, v7
	v_sub_f32_e32 v13, v5, v8
	;; [unrolled: 1-line block ×4, first 2 shown]
	v_fma_f32 v7, v4, 2.0, -v11
	v_fma_f32 v8, v5, 2.0, -v13
	;; [unrolled: 1-line block ×4, first 2 shown]
	v_sub_f32_e32 v4, v7, v4
	v_sub_f32_e32 v5, v8, v5
	v_fma_f32 v6, v7, 2.0, -v4
	v_fma_f32 v7, v8, 2.0, -v5
	v_add_f32_e32 v8, v11, v10
	v_sub_f32_e32 v9, v13, v9
	v_fma_f32 v10, v11, 2.0, -v8
	v_fma_f32 v11, v13, 2.0, -v9
	ds_write2_b64 v49, v[6:7], v[10:11] offset1:77
	ds_write2_b64 v49, v[4:5], v[8:9] offset0:154 offset1:231
	s_and_saveexec_b64 s[2:3], s[0:1]
	s_cbranch_execz .LBB0_21
; %bb.20:
	v_mul_f32_e32 v4, v19, v30
	v_fma_f32 v4, v18, v31, -v4
	v_mul_f32_e32 v9, v17, v3
	v_sub_f32_e32 v7, v1, v4
	v_fmac_f32_e32 v9, v16, v2
	v_mul_f32_e32 v4, v46, v33
	v_mul_f32_e32 v2, v17, v2
	v_fmac_f32_e32 v4, v45, v32
	v_mul_f32_e32 v5, v19, v31
	v_fma_f32 v2, v16, v3, -v2
	v_mul_f32_e32 v3, v46, v32
	v_sub_f32_e32 v10, v9, v4
	v_fmac_f32_e32 v5, v18, v30
	v_fma_f32 v3, v45, v33, -v3
	v_sub_f32_e32 v4, v7, v10
	v_sub_f32_e32 v11, v0, v5
	;; [unrolled: 1-line block ×3, first 2 shown]
	v_fma_f32 v6, v7, 2.0, -v4
	v_fma_f32 v7, v1, 2.0, -v7
	;; [unrolled: 1-line block ×5, first 2 shown]
	v_add_f32_e32 v3, v11, v8
	v_sub_f32_e32 v1, v7, v1
	v_sub_f32_e32 v0, v2, v0
	v_fma_f32 v5, v11, 2.0, -v3
	v_fma_f32 v8, v7, 2.0, -v1
	;; [unrolled: 1-line block ×3, first 2 shown]
	v_add_u32_e32 v2, 0x400, v49
	ds_write2_b64 v49, v[7:8], v[5:6] offset0:44 offset1:121
	ds_write2_b64 v2, v[0:1], v[3:4] offset0:70 offset1:147
.LBB0_21:
	s_or_b64 exec, exec, s[2:3]
	s_waitcnt lgkmcnt(0)
	; wave barrier
	s_waitcnt lgkmcnt(0)
	s_and_b64 exec, exec, vcc
	s_cbranch_execz .LBB0_23
; %bb.22:
	global_load_dwordx2 v[8:9], v49, s[12:13]
	global_load_dwordx2 v[10:11], v49, s[12:13] offset:224
	global_load_dwordx2 v[12:13], v49, s[12:13] offset:448
	;; [unrolled: 1-line block ×3, first 2 shown]
	ds_read_b64 v[16:17], v49
	ds_read2_b64 v[0:3], v49 offset0:28 offset1:56
	ds_read2_b64 v[4:7], v49 offset0:84 offset1:112
	global_load_dwordx2 v[22:23], v49, s[12:13] offset:896
	global_load_dwordx2 v[24:25], v49, s[12:13] offset:1120
	;; [unrolled: 1-line block ×3, first 2 shown]
	v_mad_u64_u32 v[18:19], s[0:1], s6, v42, 0
	v_mad_u64_u32 v[20:21], s[2:3], s4, v50, 0
	s_mul_i32 s3, s5, 0xe0
	s_mul_hi_u32 s6, s4, 0xe0
	s_add_i32 s3, s6, s3
	v_mad_u64_u32 v[28:29], s[6:7], s7, v42, v[19:20]
	v_mov_b32_e32 v31, s15
	s_mul_i32 s2, s4, 0xe0
	v_mov_b32_e32 v19, v28
	v_lshlrev_b64 v[18:19], 3, v[18:19]
	v_mov_b32_e32 v32, s3
	v_add_co_u32_e32 v36, vcc, s14, v18
	v_addc_co_u32_e32 v37, vcc, v31, v19, vcc
	v_mov_b32_e32 v33, s3
	s_mov_b32 s0, 0x606a63be
	s_mov_b32 s1, 0x3f6a98ef
	s_waitcnt vmcnt(4) lgkmcnt(1)
	v_mul_f32_e32 v34, v3, v13
	v_mul_f32_e32 v13, v2, v13
	s_waitcnt vmcnt(3) lgkmcnt(0)
	v_mul_f32_e32 v35, v5, v15
	s_waitcnt vmcnt(2)
	v_mad_u64_u32 v[29:30], s[6:7], s5, v50, v[21:22]
	v_mov_b32_e32 v30, s3
	v_mul_f32_e32 v15, v4, v15
	v_mov_b32_e32 v21, v29
	v_lshlrev_b64 v[20:21], 3, v[20:21]
	v_fmac_f32_e32 v34, v2, v12
	v_add_co_u32_e32 v18, vcc, v36, v20
	v_addc_co_u32_e32 v19, vcc, v37, v21, vcc
	v_add_co_u32_e32 v20, vcc, s2, v18
	v_addc_co_u32_e32 v21, vcc, v19, v32, vcc
	;; [unrolled: 2-line block ×3, first 2 shown]
	v_add_co_u32_e32 v30, vcc, s2, v28
	v_mul_f32_e32 v32, v17, v9
	v_mul_f32_e32 v9, v16, v9
	v_addc_co_u32_e32 v31, vcc, v29, v33, vcc
	v_mul_f32_e32 v33, v1, v11
	v_mul_f32_e32 v11, v0, v11
	v_fmac_f32_e32 v32, v16, v8
	v_fma_f32 v16, v8, v17, -v9
	v_fmac_f32_e32 v33, v0, v10
	v_fma_f32 v10, v10, v1, -v11
	v_fma_f32 v17, v12, v3, -v13
	v_cvt_f64_f32_e32 v[0:1], v32
	v_cvt_f64_f32_e32 v[2:3], v16
	global_load_dwordx2 v[8:9], v49, s[12:13] offset:1568
	v_fmac_f32_e32 v35, v4, v14
	v_fma_f32 v38, v14, v5, -v15
	v_cvt_f64_f32_e32 v[4:5], v33
	v_cvt_f64_f32_e32 v[10:11], v10
	v_cvt_f64_f32_e32 v[12:13], v34
	v_cvt_f64_f32_e32 v[14:15], v17
	v_mul_f64 v[0:1], v[0:1], s[0:1]
	v_mul_f64 v[2:3], v[2:3], s[0:1]
	;; [unrolled: 1-line block ×6, first 2 shown]
	v_cvt_f64_f32_e32 v[16:17], v35
	global_load_dwordx2 v[34:35], v49, s[12:13] offset:1792
	v_cvt_f32_f64_e32 v0, v[0:1]
	v_cvt_f32_f64_e32 v1, v[2:3]
	;; [unrolled: 1-line block ×4, first 2 shown]
	v_cvt_f64_f32_e32 v[32:33], v38
	v_cvt_f32_f64_e32 v4, v[12:13]
	v_cvt_f32_f64_e32 v5, v[14:15]
	global_store_dwordx2 v[18:19], v[0:1], off
	global_store_dwordx2 v[20:21], v[2:3], off
	;; [unrolled: 1-line block ×3, first 2 shown]
	v_mul_f32_e32 v0, v7, v23
	v_fmac_f32_e32 v0, v6, v22
	v_mul_f64 v[16:17], v[16:17], s[0:1]
	v_mul_f64 v[32:33], v[32:33], s[0:1]
	v_cvt_f64_f32_e32 v[4:5], v0
	v_mul_f32_e32 v0, v6, v23
	v_fma_f32 v0, v22, v7, -v0
	v_cvt_f64_f32_e32 v[6:7], v0
	ds_read2_b64 v[0:3], v49 offset0:140 offset1:168
	v_mul_f64 v[4:5], v[4:5], s[0:1]
	v_cvt_f32_f64_e32 v10, v[16:17]
	v_mul_f64 v[6:7], v[6:7], s[0:1]
	v_cvt_f32_f64_e32 v11, v[32:33]
	s_waitcnt vmcnt(6) lgkmcnt(0)
	v_mul_f32_e32 v12, v1, v25
	v_fmac_f32_e32 v12, v0, v24
	v_cvt_f64_f32_e32 v[12:13], v12
	global_store_dwordx2 v[30:31], v[10:11], off
	global_load_dwordx2 v[10:11], v49, s[12:13] offset:2016
	v_cvt_f32_f64_e32 v4, v[4:5]
	v_cvt_f32_f64_e32 v5, v[6:7]
	v_mul_f64 v[6:7], v[12:13], s[0:1]
	global_load_dwordx2 v[12:13], v49, s[12:13] offset:2240
	v_mul_f32_e32 v0, v0, v25
	v_fma_f32 v0, v24, v1, -v0
	v_cvt_f64_f32_e32 v[0:1], v0
	v_mov_b32_e32 v15, s3
	v_add_co_u32_e32 v14, vcc, s2, v30
	v_mul_f64 v[0:1], v[0:1], s[0:1]
	v_addc_co_u32_e32 v15, vcc, v31, v15, vcc
	global_store_dwordx2 v[14:15], v[4:5], off
	v_cvt_f32_f64_e32 v4, v[6:7]
	v_mov_b32_e32 v18, s3
	v_add_co_u32_e32 v14, vcc, s2, v14
	v_cvt_f32_f64_e32 v5, v[0:1]
	s_waitcnt vmcnt(9)
	v_mul_f32_e32 v0, v3, v27
	v_fmac_f32_e32 v0, v2, v26
	v_cvt_f64_f32_e32 v[6:7], v0
	v_mul_f32_e32 v0, v2, v27
	v_fma_f32 v0, v26, v3, -v0
	v_cvt_f64_f32_e32 v[16:17], v0
	ds_read2_b64 v[0:3], v49 offset0:196 offset1:224
	v_addc_co_u32_e32 v15, vcc, v15, v18, vcc
	global_store_dwordx2 v[14:15], v[4:5], off
	v_mul_f64 v[4:5], v[6:7], s[0:1]
	v_mul_f64 v[6:7], v[16:17], s[0:1]
	v_or_b32_e32 v18, 0xe0, v50
	v_cvt_f32_f64_e32 v4, v[4:5]
	s_waitcnt vmcnt(9) lgkmcnt(0)
	v_mul_f32_e32 v16, v1, v9
	v_fmac_f32_e32 v16, v0, v8
	v_mul_f32_e32 v0, v0, v9
	v_fma_f32 v0, v8, v1, -v0
	v_cvt_f64_f32_e32 v[16:17], v16
	v_cvt_f64_f32_e32 v[0:1], v0
	v_cvt_f32_f64_e32 v5, v[6:7]
	v_mov_b32_e32 v9, s3
	v_mul_f64 v[6:7], v[16:17], s[0:1]
	v_mul_f64 v[0:1], v[0:1], s[0:1]
	v_add_co_u32_e32 v8, vcc, s2, v14
	v_addc_co_u32_e32 v9, vcc, v15, v9, vcc
	global_store_dwordx2 v[8:9], v[4:5], off
	v_cvt_f32_f64_e32 v4, v[6:7]
	v_cvt_f32_f64_e32 v5, v[0:1]
	v_mov_b32_e32 v0, s3
	v_add_co_u32_e32 v6, vcc, s2, v8
	v_addc_co_u32_e32 v7, vcc, v9, v0, vcc
	s_waitcnt vmcnt(9)
	v_mul_f32_e32 v0, v3, v35
	v_fmac_f32_e32 v0, v2, v34
	v_cvt_f64_f32_e32 v[0:1], v0
	v_mul_f32_e32 v2, v2, v35
	v_mad_u64_u32 v[8:9], s[6:7], s4, v18, 0
	v_fma_f32 v2, v34, v3, -v2
	v_cvt_f64_f32_e32 v[2:3], v2
	v_mul_f64 v[14:15], v[0:1], s[0:1]
	v_mov_b32_e32 v0, v9
	global_store_dwordx2 v[6:7], v[4:5], off
	v_mad_u64_u32 v[4:5], s[6:7], s5, v18, v[0:1]
	v_add_u32_e32 v0, 0x400, v49
	v_mul_f64 v[16:17], v[2:3], s[0:1]
	ds_read2_b64 v[0:3], v0 offset0:124 offset1:152
	v_mov_b32_e32 v9, v4
	v_lshlrev_b64 v[4:5], 3, v[8:9]
	v_cvt_f32_f64_e32 v14, v[14:15]
	v_add_co_u32_e32 v4, vcc, v36, v4
	s_waitcnt vmcnt(5) lgkmcnt(0)
	v_mul_f32_e32 v8, v1, v11
	v_fmac_f32_e32 v8, v0, v10
	v_mul_f32_e32 v0, v0, v11
	v_cvt_f64_f32_e32 v[8:9], v8
	v_fma_f32 v0, v10, v1, -v0
	s_waitcnt vmcnt(4)
	v_mul_f32_e32 v10, v3, v13
	v_fmac_f32_e32 v10, v2, v12
	v_mul_f32_e32 v2, v2, v13
	v_fma_f32 v2, v12, v3, -v2
	v_cvt_f64_f32_e32 v[0:1], v0
	v_cvt_f64_f32_e32 v[10:11], v10
	;; [unrolled: 1-line block ×3, first 2 shown]
	v_mul_f64 v[8:9], v[8:9], s[0:1]
	v_mul_f64 v[0:1], v[0:1], s[0:1]
	;; [unrolled: 1-line block ×4, first 2 shown]
	v_cvt_f32_f64_e32 v15, v[16:17]
	v_addc_co_u32_e32 v5, vcc, v37, v5, vcc
	v_cvt_f32_f64_e32 v8, v[8:9]
	v_mov_b32_e32 v9, 0x1c0
	v_mad_u64_u32 v[6:7], s[0:1], s4, v9, v[6:7]
	v_cvt_f32_f64_e32 v9, v[0:1]
	v_cvt_f32_f64_e32 v0, v[10:11]
	;; [unrolled: 1-line block ×3, first 2 shown]
	s_mul_i32 s0, s5, 0x1c0
	v_add_u32_e32 v7, s0, v7
	v_mov_b32_e32 v3, s3
	v_add_co_u32_e32 v2, vcc, s2, v6
	v_addc_co_u32_e32 v3, vcc, v7, v3, vcc
	global_store_dwordx2 v[4:5], v[14:15], off
	global_store_dwordx2 v[6:7], v[8:9], off
	;; [unrolled: 1-line block ×3, first 2 shown]
.LBB0_23:
	s_endpgm
	.section	.rodata,"a",@progbits
	.p2align	6, 0x0
	.amdhsa_kernel bluestein_single_fwd_len308_dim1_sp_op_CI_CI
		.amdhsa_group_segment_fixed_size 2464
		.amdhsa_private_segment_fixed_size 0
		.amdhsa_kernarg_size 104
		.amdhsa_user_sgpr_count 6
		.amdhsa_user_sgpr_private_segment_buffer 1
		.amdhsa_user_sgpr_dispatch_ptr 0
		.amdhsa_user_sgpr_queue_ptr 0
		.amdhsa_user_sgpr_kernarg_segment_ptr 1
		.amdhsa_user_sgpr_dispatch_id 0
		.amdhsa_user_sgpr_flat_scratch_init 0
		.amdhsa_user_sgpr_private_segment_size 0
		.amdhsa_uses_dynamic_stack 0
		.amdhsa_system_sgpr_private_segment_wavefront_offset 0
		.amdhsa_system_sgpr_workgroup_id_x 1
		.amdhsa_system_sgpr_workgroup_id_y 0
		.amdhsa_system_sgpr_workgroup_id_z 0
		.amdhsa_system_sgpr_workgroup_info 0
		.amdhsa_system_vgpr_workitem_id 0
		.amdhsa_next_free_vgpr 127
		.amdhsa_next_free_sgpr 17
		.amdhsa_reserve_vcc 1
		.amdhsa_reserve_flat_scratch 0
		.amdhsa_float_round_mode_32 0
		.amdhsa_float_round_mode_16_64 0
		.amdhsa_float_denorm_mode_32 3
		.amdhsa_float_denorm_mode_16_64 3
		.amdhsa_dx10_clamp 1
		.amdhsa_ieee_mode 1
		.amdhsa_fp16_overflow 0
		.amdhsa_exception_fp_ieee_invalid_op 0
		.amdhsa_exception_fp_denorm_src 0
		.amdhsa_exception_fp_ieee_div_zero 0
		.amdhsa_exception_fp_ieee_overflow 0
		.amdhsa_exception_fp_ieee_underflow 0
		.amdhsa_exception_fp_ieee_inexact 0
		.amdhsa_exception_int_div_zero 0
	.end_amdhsa_kernel
	.text
.Lfunc_end0:
	.size	bluestein_single_fwd_len308_dim1_sp_op_CI_CI, .Lfunc_end0-bluestein_single_fwd_len308_dim1_sp_op_CI_CI
                                        ; -- End function
	.section	.AMDGPU.csdata,"",@progbits
; Kernel info:
; codeLenInByte = 9444
; NumSgprs: 21
; NumVgprs: 127
; ScratchSize: 0
; MemoryBound: 0
; FloatMode: 240
; IeeeMode: 1
; LDSByteSize: 2464 bytes/workgroup (compile time only)
; SGPRBlocks: 2
; VGPRBlocks: 31
; NumSGPRsForWavesPerEU: 21
; NumVGPRsForWavesPerEU: 127
; Occupancy: 2
; WaveLimiterHint : 1
; COMPUTE_PGM_RSRC2:SCRATCH_EN: 0
; COMPUTE_PGM_RSRC2:USER_SGPR: 6
; COMPUTE_PGM_RSRC2:TRAP_HANDLER: 0
; COMPUTE_PGM_RSRC2:TGID_X_EN: 1
; COMPUTE_PGM_RSRC2:TGID_Y_EN: 0
; COMPUTE_PGM_RSRC2:TGID_Z_EN: 0
; COMPUTE_PGM_RSRC2:TIDIG_COMP_CNT: 0
	.type	__hip_cuid_ed479b594c5ac07,@object ; @__hip_cuid_ed479b594c5ac07
	.section	.bss,"aw",@nobits
	.globl	__hip_cuid_ed479b594c5ac07
__hip_cuid_ed479b594c5ac07:
	.byte	0                               ; 0x0
	.size	__hip_cuid_ed479b594c5ac07, 1

	.ident	"AMD clang version 19.0.0git (https://github.com/RadeonOpenCompute/llvm-project roc-6.4.0 25133 c7fe45cf4b819c5991fe208aaa96edf142730f1d)"
	.section	".note.GNU-stack","",@progbits
	.addrsig
	.addrsig_sym __hip_cuid_ed479b594c5ac07
	.amdgpu_metadata
---
amdhsa.kernels:
  - .args:
      - .actual_access:  read_only
        .address_space:  global
        .offset:         0
        .size:           8
        .value_kind:     global_buffer
      - .actual_access:  read_only
        .address_space:  global
        .offset:         8
        .size:           8
        .value_kind:     global_buffer
      - .actual_access:  read_only
        .address_space:  global
        .offset:         16
        .size:           8
        .value_kind:     global_buffer
      - .actual_access:  read_only
        .address_space:  global
        .offset:         24
        .size:           8
        .value_kind:     global_buffer
      - .actual_access:  read_only
        .address_space:  global
        .offset:         32
        .size:           8
        .value_kind:     global_buffer
      - .offset:         40
        .size:           8
        .value_kind:     by_value
      - .address_space:  global
        .offset:         48
        .size:           8
        .value_kind:     global_buffer
      - .address_space:  global
        .offset:         56
        .size:           8
        .value_kind:     global_buffer
      - .address_space:  global
        .offset:         64
        .size:           8
        .value_kind:     global_buffer
      - .address_space:  global
        .offset:         72
        .size:           8
        .value_kind:     global_buffer
      - .offset:         80
        .size:           4
        .value_kind:     by_value
      - .address_space:  global
        .offset:         88
        .size:           8
        .value_kind:     global_buffer
      - .address_space:  global
        .offset:         96
        .size:           8
        .value_kind:     global_buffer
    .group_segment_fixed_size: 2464
    .kernarg_segment_align: 8
    .kernarg_segment_size: 104
    .language:       OpenCL C
    .language_version:
      - 2
      - 0
    .max_flat_workgroup_size: 44
    .name:           bluestein_single_fwd_len308_dim1_sp_op_CI_CI
    .private_segment_fixed_size: 0
    .sgpr_count:     21
    .sgpr_spill_count: 0
    .symbol:         bluestein_single_fwd_len308_dim1_sp_op_CI_CI.kd
    .uniform_work_group_size: 1
    .uses_dynamic_stack: false
    .vgpr_count:     127
    .vgpr_spill_count: 0
    .wavefront_size: 64
amdhsa.target:   amdgcn-amd-amdhsa--gfx906
amdhsa.version:
  - 1
  - 2
...

	.end_amdgpu_metadata
